;; amdgpu-corpus repo=ROCm/rocFFT kind=compiled arch=gfx906 opt=O3
	.text
	.amdgcn_target "amdgcn-amd-amdhsa--gfx906"
	.amdhsa_code_object_version 6
	.protected	fft_rtc_fwd_len1560_factors_13_2_2_10_3_wgs_156_tpt_156_half_op_CI_CI_sbrr_dirReg ; -- Begin function fft_rtc_fwd_len1560_factors_13_2_2_10_3_wgs_156_tpt_156_half_op_CI_CI_sbrr_dirReg
	.globl	fft_rtc_fwd_len1560_factors_13_2_2_10_3_wgs_156_tpt_156_half_op_CI_CI_sbrr_dirReg
	.p2align	8
	.type	fft_rtc_fwd_len1560_factors_13_2_2_10_3_wgs_156_tpt_156_half_op_CI_CI_sbrr_dirReg,@function
fft_rtc_fwd_len1560_factors_13_2_2_10_3_wgs_156_tpt_156_half_op_CI_CI_sbrr_dirReg: ; @fft_rtc_fwd_len1560_factors_13_2_2_10_3_wgs_156_tpt_156_half_op_CI_CI_sbrr_dirReg
; %bb.0:
	s_load_dwordx4 s[16:19], s[4:5], 0x18
	s_load_dwordx4 s[8:11], s[4:5], 0x0
	;; [unrolled: 1-line block ×3, first 2 shown]
	v_mul_u32_u24_e32 v1, 0x1a5, v0
	v_mov_b32_e32 v7, 0
	s_waitcnt lgkmcnt(0)
	s_load_dwordx2 s[22:23], s[16:17], 0x0
	s_load_dwordx2 s[20:21], s[18:19], 0x0
	v_cmp_lt_u64_e64 s[0:1], s[10:11], 2
	v_mov_b32_e32 v5, 0
	v_add_u32_sdwa v9, s6, v1 dst_sel:DWORD dst_unused:UNUSED_PAD src0_sel:DWORD src1_sel:WORD_1
	v_mov_b32_e32 v10, v7
	s_and_b64 vcc, exec, s[0:1]
	v_mov_b32_e32 v6, 0
	s_cbranch_vccnz .LBB0_8
; %bb.1:
	s_load_dwordx2 s[0:1], s[4:5], 0x10
	s_add_u32 s2, s18, 8
	s_addc_u32 s3, s19, 0
	s_add_u32 s6, s16, 8
	s_addc_u32 s7, s17, 0
	v_mov_b32_e32 v5, 0
	s_waitcnt lgkmcnt(0)
	s_add_u32 s24, s0, 8
	v_mov_b32_e32 v6, 0
	v_mov_b32_e32 v1, v5
	s_addc_u32 s25, s1, 0
	s_mov_b64 s[26:27], 1
	v_mov_b32_e32 v2, v6
.LBB0_2:                                ; =>This Inner Loop Header: Depth=1
	s_load_dwordx2 s[28:29], s[24:25], 0x0
                                        ; implicit-def: $vgpr3_vgpr4
	s_waitcnt lgkmcnt(0)
	v_or_b32_e32 v8, s29, v10
	v_cmp_ne_u64_e32 vcc, 0, v[7:8]
	s_and_saveexec_b64 s[0:1], vcc
	s_xor_b64 s[30:31], exec, s[0:1]
	s_cbranch_execz .LBB0_4
; %bb.3:                                ;   in Loop: Header=BB0_2 Depth=1
	v_cvt_f32_u32_e32 v3, s28
	v_cvt_f32_u32_e32 v4, s29
	s_sub_u32 s0, 0, s28
	s_subb_u32 s1, 0, s29
	v_mac_f32_e32 v3, 0x4f800000, v4
	v_rcp_f32_e32 v3, v3
	v_mul_f32_e32 v3, 0x5f7ffffc, v3
	v_mul_f32_e32 v4, 0x2f800000, v3
	v_trunc_f32_e32 v4, v4
	v_mac_f32_e32 v3, 0xcf800000, v4
	v_cvt_u32_f32_e32 v4, v4
	v_cvt_u32_f32_e32 v3, v3
	v_mul_lo_u32 v8, s0, v4
	v_mul_hi_u32 v11, s0, v3
	v_mul_lo_u32 v13, s1, v3
	v_mul_lo_u32 v12, s0, v3
	v_add_u32_e32 v8, v11, v8
	v_add_u32_e32 v8, v8, v13
	v_mul_hi_u32 v11, v3, v12
	v_mul_lo_u32 v13, v3, v8
	v_mul_hi_u32 v15, v3, v8
	v_mul_hi_u32 v14, v4, v12
	v_mul_lo_u32 v12, v4, v12
	v_mul_hi_u32 v16, v4, v8
	v_add_co_u32_e32 v11, vcc, v11, v13
	v_addc_co_u32_e32 v13, vcc, 0, v15, vcc
	v_mul_lo_u32 v8, v4, v8
	v_add_co_u32_e32 v11, vcc, v11, v12
	v_addc_co_u32_e32 v11, vcc, v13, v14, vcc
	v_addc_co_u32_e32 v12, vcc, 0, v16, vcc
	v_add_co_u32_e32 v8, vcc, v11, v8
	v_addc_co_u32_e32 v11, vcc, 0, v12, vcc
	v_add_co_u32_e32 v3, vcc, v3, v8
	v_addc_co_u32_e32 v4, vcc, v4, v11, vcc
	v_mul_lo_u32 v8, s0, v4
	v_mul_hi_u32 v11, s0, v3
	v_mul_lo_u32 v12, s1, v3
	v_mul_lo_u32 v13, s0, v3
	v_add_u32_e32 v8, v11, v8
	v_add_u32_e32 v8, v8, v12
	v_mul_lo_u32 v14, v3, v8
	v_mul_hi_u32 v15, v3, v13
	v_mul_hi_u32 v16, v3, v8
	;; [unrolled: 1-line block ×3, first 2 shown]
	v_mul_lo_u32 v13, v4, v13
	v_mul_hi_u32 v11, v4, v8
	v_add_co_u32_e32 v14, vcc, v15, v14
	v_addc_co_u32_e32 v15, vcc, 0, v16, vcc
	v_mul_lo_u32 v8, v4, v8
	v_add_co_u32_e32 v13, vcc, v14, v13
	v_addc_co_u32_e32 v12, vcc, v15, v12, vcc
	v_addc_co_u32_e32 v11, vcc, 0, v11, vcc
	v_add_co_u32_e32 v8, vcc, v12, v8
	v_addc_co_u32_e32 v11, vcc, 0, v11, vcc
	v_add_co_u32_e32 v8, vcc, v3, v8
	v_addc_co_u32_e32 v11, vcc, v4, v11, vcc
	v_mad_u64_u32 v[3:4], s[0:1], v9, v11, 0
	v_mul_hi_u32 v12, v9, v8
	v_add_co_u32_e32 v13, vcc, v12, v3
	v_addc_co_u32_e32 v14, vcc, 0, v4, vcc
	v_mad_u64_u32 v[3:4], s[0:1], v10, v8, 0
	v_mad_u64_u32 v[11:12], s[0:1], v10, v11, 0
	v_add_co_u32_e32 v3, vcc, v13, v3
	v_addc_co_u32_e32 v3, vcc, v14, v4, vcc
	v_addc_co_u32_e32 v4, vcc, 0, v12, vcc
	v_add_co_u32_e32 v8, vcc, v3, v11
	v_addc_co_u32_e32 v11, vcc, 0, v4, vcc
	v_mul_lo_u32 v12, s29, v8
	v_mul_lo_u32 v13, s28, v11
	v_mad_u64_u32 v[3:4], s[0:1], s28, v8, 0
	v_add3_u32 v4, v4, v13, v12
	v_sub_u32_e32 v12, v10, v4
	v_mov_b32_e32 v13, s29
	v_sub_co_u32_e32 v3, vcc, v9, v3
	v_subb_co_u32_e64 v12, s[0:1], v12, v13, vcc
	v_subrev_co_u32_e64 v13, s[0:1], s28, v3
	v_subbrev_co_u32_e64 v12, s[0:1], 0, v12, s[0:1]
	v_cmp_le_u32_e64 s[0:1], s29, v12
	v_cndmask_b32_e64 v14, 0, -1, s[0:1]
	v_cmp_le_u32_e64 s[0:1], s28, v13
	v_cndmask_b32_e64 v13, 0, -1, s[0:1]
	v_cmp_eq_u32_e64 s[0:1], s29, v12
	v_cndmask_b32_e64 v12, v14, v13, s[0:1]
	v_add_co_u32_e64 v13, s[0:1], 2, v8
	v_addc_co_u32_e64 v14, s[0:1], 0, v11, s[0:1]
	v_add_co_u32_e64 v15, s[0:1], 1, v8
	v_addc_co_u32_e64 v16, s[0:1], 0, v11, s[0:1]
	v_subb_co_u32_e32 v4, vcc, v10, v4, vcc
	v_cmp_ne_u32_e64 s[0:1], 0, v12
	v_cmp_le_u32_e32 vcc, s29, v4
	v_cndmask_b32_e64 v12, v16, v14, s[0:1]
	v_cndmask_b32_e64 v14, 0, -1, vcc
	v_cmp_le_u32_e32 vcc, s28, v3
	v_cndmask_b32_e64 v3, 0, -1, vcc
	v_cmp_eq_u32_e32 vcc, s29, v4
	v_cndmask_b32_e32 v3, v14, v3, vcc
	v_cmp_ne_u32_e32 vcc, 0, v3
	v_cndmask_b32_e64 v3, v15, v13, s[0:1]
	v_cndmask_b32_e32 v4, v11, v12, vcc
	v_cndmask_b32_e32 v3, v8, v3, vcc
.LBB0_4:                                ;   in Loop: Header=BB0_2 Depth=1
	s_andn2_saveexec_b64 s[0:1], s[30:31]
	s_cbranch_execz .LBB0_6
; %bb.5:                                ;   in Loop: Header=BB0_2 Depth=1
	v_cvt_f32_u32_e32 v3, s28
	s_sub_i32 s30, 0, s28
	v_rcp_iflag_f32_e32 v3, v3
	v_mul_f32_e32 v3, 0x4f7ffffe, v3
	v_cvt_u32_f32_e32 v3, v3
	v_mul_lo_u32 v4, s30, v3
	v_mul_hi_u32 v4, v3, v4
	v_add_u32_e32 v3, v3, v4
	v_mul_hi_u32 v3, v9, v3
	v_mul_lo_u32 v4, v3, s28
	v_add_u32_e32 v8, 1, v3
	v_sub_u32_e32 v4, v9, v4
	v_subrev_u32_e32 v11, s28, v4
	v_cmp_le_u32_e32 vcc, s28, v4
	v_cndmask_b32_e32 v4, v4, v11, vcc
	v_cndmask_b32_e32 v3, v3, v8, vcc
	v_add_u32_e32 v8, 1, v3
	v_cmp_le_u32_e32 vcc, s28, v4
	v_cndmask_b32_e32 v3, v3, v8, vcc
	v_mov_b32_e32 v4, v7
.LBB0_6:                                ;   in Loop: Header=BB0_2 Depth=1
	s_or_b64 exec, exec, s[0:1]
	v_mul_lo_u32 v8, v4, s28
	v_mul_lo_u32 v13, v3, s29
	v_mad_u64_u32 v[11:12], s[0:1], v3, s28, 0
	s_load_dwordx2 s[0:1], s[6:7], 0x0
	s_load_dwordx2 s[28:29], s[2:3], 0x0
	v_add3_u32 v8, v12, v13, v8
	v_sub_co_u32_e32 v9, vcc, v9, v11
	v_subb_co_u32_e32 v8, vcc, v10, v8, vcc
	s_waitcnt lgkmcnt(0)
	v_mul_lo_u32 v10, s0, v8
	v_mul_lo_u32 v11, s1, v9
	v_mad_u64_u32 v[5:6], s[0:1], s0, v9, v[5:6]
	v_mul_lo_u32 v8, s28, v8
	v_mul_lo_u32 v12, s29, v9
	v_mad_u64_u32 v[1:2], s[0:1], s28, v9, v[1:2]
	s_add_u32 s26, s26, 1
	s_addc_u32 s27, s27, 0
	s_add_u32 s2, s2, 8
	v_add3_u32 v2, v12, v2, v8
	s_addc_u32 s3, s3, 0
	v_mov_b32_e32 v8, s10
	s_add_u32 s6, s6, 8
	v_mov_b32_e32 v9, s11
	s_addc_u32 s7, s7, 0
	v_cmp_ge_u64_e32 vcc, s[26:27], v[8:9]
	s_add_u32 s24, s24, 8
	v_add3_u32 v6, v11, v6, v10
	s_addc_u32 s25, s25, 0
	s_cbranch_vccnz .LBB0_9
; %bb.7:                                ;   in Loop: Header=BB0_2 Depth=1
	v_mov_b32_e32 v10, v4
	v_mov_b32_e32 v9, v3
	s_branch .LBB0_2
.LBB0_8:
	v_mov_b32_e32 v1, v5
	v_mov_b32_e32 v3, v9
	;; [unrolled: 1-line block ×4, first 2 shown]
.LBB0_9:
	s_load_dwordx2 s[0:1], s[4:5], 0x28
	s_mov_b32 s4, 0x1a41a42
	v_mul_hi_u32 v7, v0, s4
	s_lshl_b64 s[2:3], s[10:11], 3
	s_add_u32 s4, s18, s2
	s_waitcnt lgkmcnt(0)
	v_cmp_gt_u64_e32 vcc, s[0:1], v[3:4]
	v_mul_u32_u24_e32 v7, 0x9c, v7
	v_sub_u32_e32 v0, v0, v7
	s_movk_i32 s0, 0x78
	v_cmp_gt_u32_e64 s[0:1], s0, v0
	s_addc_u32 s5, s19, s3
	s_and_b64 s[10:11], vcc, s[0:1]
	v_mov_b32_e32 v24, 0
	v_mov_b32_e32 v7, 0
                                        ; implicit-def: $vgpr25
                                        ; implicit-def: $vgpr8
                                        ; implicit-def: $vgpr26
                                        ; implicit-def: $vgpr9
                                        ; implicit-def: $vgpr27
                                        ; implicit-def: $vgpr10
                                        ; implicit-def: $vgpr28
                                        ; implicit-def: $vgpr11
                                        ; implicit-def: $vgpr29
                                        ; implicit-def: $vgpr12
                                        ; implicit-def: $vgpr30
                                        ; implicit-def: $vgpr13
                                        ; implicit-def: $vgpr31
                                        ; implicit-def: $vgpr14
                                        ; implicit-def: $vgpr32
                                        ; implicit-def: $vgpr19
                                        ; implicit-def: $vgpr33
                                        ; implicit-def: $vgpr20
                                        ; implicit-def: $vgpr34
                                        ; implicit-def: $vgpr21
                                        ; implicit-def: $vgpr35
                                        ; implicit-def: $vgpr22
                                        ; implicit-def: $vgpr36
                                        ; implicit-def: $vgpr23
	s_and_saveexec_b64 s[6:7], s[10:11]
	s_cbranch_execz .LBB0_11
; %bb.10:
	s_add_u32 s2, s16, s2
	s_addc_u32 s3, s17, s3
	s_load_dwordx2 s[2:3], s[2:3], 0x0
	v_mad_u64_u32 v[7:8], s[10:11], s22, v0, 0
	v_lshlrev_b64 v[5:6], 2, v[5:6]
	v_add_u32_e32 v36, 0x438, v0
	s_waitcnt lgkmcnt(0)
	v_mul_lo_u32 v13, s3, v3
	v_mul_lo_u32 v14, s2, v4
	v_mad_u64_u32 v[9:10], s[2:3], s2, v3, 0
	v_mad_u64_u32 v[11:12], s[2:3], s23, v0, v[8:9]
	v_add3_u32 v10, v10, v14, v13
	v_lshlrev_b64 v[9:10], 2, v[9:10]
	v_mov_b32_e32 v8, v11
	v_mov_b32_e32 v11, s13
	v_add_co_u32_e64 v12, s[2:3], s12, v9
	v_add_u32_e32 v13, 0x78, v0
	v_addc_co_u32_e64 v11, s[2:3], v11, v10, s[2:3]
	v_mad_u64_u32 v[9:10], s[2:3], s22, v13, 0
	v_add_co_u32_e64 v34, s[2:3], v12, v5
	v_addc_co_u32_e64 v35, s[2:3], v11, v6, s[2:3]
	v_lshlrev_b64 v[5:6], 2, v[7:8]
	v_mov_b32_e32 v7, v10
	v_mad_u64_u32 v[7:8], s[2:3], s23, v13, v[7:8]
	v_add_u32_e32 v13, 0xf0, v0
	v_mad_u64_u32 v[11:12], s[2:3], s22, v13, 0
	v_mov_b32_e32 v10, v7
	v_add_co_u32_e64 v5, s[2:3], v34, v5
	v_lshlrev_b64 v[7:8], 2, v[9:10]
	v_mov_b32_e32 v9, v12
	v_addc_co_u32_e64 v6, s[2:3], v35, v6, s[2:3]
	v_mad_u64_u32 v[9:10], s[2:3], s23, v13, v[9:10]
	v_add_u32_e32 v10, 0x168, v0
	v_mad_u64_u32 v[13:14], s[2:3], s22, v10, 0
	v_add_co_u32_e64 v15, s[2:3], v34, v7
	v_mov_b32_e32 v12, v9
	v_mov_b32_e32 v9, v14
	v_addc_co_u32_e64 v16, s[2:3], v35, v8, s[2:3]
	v_lshlrev_b64 v[7:8], 2, v[11:12]
	v_mad_u64_u32 v[9:10], s[2:3], s23, v10, v[9:10]
	v_add_u32_e32 v12, 0x1e0, v0
	v_mad_u64_u32 v[10:11], s[2:3], s22, v12, 0
	v_add_co_u32_e64 v17, s[2:3], v34, v7
	v_mov_b32_e32 v14, v9
	v_mov_b32_e32 v9, v11
	v_addc_co_u32_e64 v18, s[2:3], v35, v8, s[2:3]
	v_lshlrev_b64 v[7:8], 2, v[13:14]
	v_mad_u64_u32 v[11:12], s[2:3], s23, v12, v[9:10]
	v_add_u32_e32 v14, 0x258, v0
	v_mad_u64_u32 v[12:13], s[2:3], s22, v14, 0
	v_add_co_u32_e64 v19, s[2:3], v34, v7
	v_mov_b32_e32 v9, v13
	v_addc_co_u32_e64 v20, s[2:3], v35, v8, s[2:3]
	v_lshlrev_b64 v[7:8], 2, v[10:11]
	v_mad_u64_u32 v[9:10], s[2:3], s23, v14, v[9:10]
	v_add_u32_e32 v14, 0x2d0, v0
	v_mad_u64_u32 v[10:11], s[2:3], s22, v14, 0
	v_add_co_u32_e64 v21, s[2:3], v34, v7
	v_mov_b32_e32 v13, v9
	v_mov_b32_e32 v9, v11
	v_addc_co_u32_e64 v22, s[2:3], v35, v8, s[2:3]
	v_lshlrev_b64 v[7:8], 2, v[12:13]
	v_mad_u64_u32 v[11:12], s[2:3], s23, v14, v[9:10]
	v_add_u32_e32 v14, 0x348, v0
	v_mad_u64_u32 v[12:13], s[2:3], s22, v14, 0
	v_add_co_u32_e64 v23, s[2:3], v34, v7
	v_mov_b32_e32 v9, v13
	v_addc_co_u32_e64 v24, s[2:3], v35, v8, s[2:3]
	v_lshlrev_b64 v[7:8], 2, v[10:11]
	v_mad_u64_u32 v[9:10], s[2:3], s23, v14, v[9:10]
	v_add_co_u32_e64 v25, s[2:3], v34, v7
	v_mov_b32_e32 v13, v9
	v_add_u32_e32 v9, 0x3c0, v0
	v_addc_co_u32_e64 v26, s[2:3], v35, v8, s[2:3]
	v_mad_u64_u32 v[27:28], s[2:3], s22, v9, 0
	v_lshlrev_b64 v[7:8], 2, v[12:13]
	v_add_co_u32_e64 v29, s[2:3], v34, v7
	v_mov_b32_e32 v7, v28
	v_addc_co_u32_e64 v30, s[2:3], v35, v8, s[2:3]
	v_mad_u64_u32 v[31:32], s[2:3], s23, v9, v[7:8]
	v_mad_u64_u32 v[32:33], s[2:3], s22, v36, 0
	global_load_dword v7, v[5:6], off
	global_load_dword v8, v[15:16], off
	;; [unrolled: 1-line block ×8, first 2 shown]
	v_add_u32_e32 v20, 0x4b0, v0
	v_mov_b32_e32 v15, v33
	v_mad_u64_u32 v[15:16], s[2:3], s23, v36, v[15:16]
	v_mad_u64_u32 v[16:17], s[2:3], s22, v20, 0
	v_mov_b32_e32 v28, v31
	v_lshlrev_b64 v[5:6], 2, v[27:28]
	v_mov_b32_e32 v33, v15
	v_add_co_u32_e64 v5, s[2:3], v34, v5
	v_mov_b32_e32 v15, v17
	v_addc_co_u32_e64 v6, s[2:3], v35, v6, s[2:3]
	v_mad_u64_u32 v[20:21], s[2:3], s23, v20, v[15:16]
	v_add_u32_e32 v23, 0x528, v0
	v_mad_u64_u32 v[21:22], s[2:3], s22, v23, 0
	v_lshlrev_b64 v[18:19], 2, v[32:33]
	v_mov_b32_e32 v17, v20
	v_add_co_u32_e64 v24, s[2:3], v34, v18
	v_lshlrev_b64 v[15:16], 2, v[16:17]
	v_mov_b32_e32 v17, v22
	v_addc_co_u32_e64 v25, s[2:3], v35, v19, s[2:3]
	v_mad_u64_u32 v[17:18], s[2:3], s23, v23, v[17:18]
	v_add_u32_e32 v23, 0x5a0, v0
	v_mad_u64_u32 v[18:19], s[2:3], s22, v23, 0
	v_add_co_u32_e64 v15, s[2:3], v34, v15
	v_mov_b32_e32 v22, v17
	v_mov_b32_e32 v17, v19
	v_addc_co_u32_e64 v16, s[2:3], v35, v16, s[2:3]
	v_lshlrev_b64 v[20:21], 2, v[21:22]
	v_mad_u64_u32 v[22:23], s[2:3], s23, v23, v[17:18]
	v_add_co_u32_e64 v26, s[2:3], v34, v20
	v_mov_b32_e32 v19, v22
	v_lshlrev_b64 v[17:18], 2, v[18:19]
	v_addc_co_u32_e64 v27, s[2:3], v35, v21, s[2:3]
	v_add_co_u32_e64 v17, s[2:3], v34, v17
	v_addc_co_u32_e64 v18, s[2:3], v35, v18, s[2:3]
	global_load_dword v19, v[5:6], off
	global_load_dword v20, v[24:25], off
	;; [unrolled: 1-line block ×5, first 2 shown]
	s_waitcnt vmcnt(12)
	v_lshrrev_b32_e32 v24, 16, v7
	s_waitcnt vmcnt(11)
	v_lshrrev_b32_e32 v25, 16, v8
	s_waitcnt vmcnt(10)
	v_lshrrev_b32_e32 v26, 16, v9
	s_waitcnt vmcnt(9)
	v_lshrrev_b32_e32 v27, 16, v10
	s_waitcnt vmcnt(8)
	v_lshrrev_b32_e32 v28, 16, v11
	s_waitcnt vmcnt(7)
	v_lshrrev_b32_e32 v29, 16, v12
	s_waitcnt vmcnt(6)
	v_lshrrev_b32_e32 v30, 16, v13
	s_waitcnt vmcnt(5)
	v_lshrrev_b32_e32 v31, 16, v14
	s_waitcnt vmcnt(4)
	v_lshrrev_b32_e32 v32, 16, v19
	s_waitcnt vmcnt(3)
	v_lshrrev_b32_e32 v33, 16, v20
	s_waitcnt vmcnt(2)
	v_lshrrev_b32_e32 v36, 16, v23
	s_waitcnt vmcnt(1)
	v_lshrrev_b32_e32 v35, 16, v22
	s_waitcnt vmcnt(0)
	v_lshrrev_b32_e32 v34, 16, v21
.LBB0_11:
	s_or_b64 exec, exec, s[6:7]
	v_add_f16_e32 v37, v8, v21
	v_sub_f16_e32 v5, v25, v34
	v_mul_f16_e32 v42, 0x388b, v37
	s_mov_b32 s6, 0xba95
	v_fma_f16 v6, v5, s6, v42
	v_add_f16_e32 v39, v9, v22
	v_add_f16_e32 v15, v7, v6
	v_sub_f16_e32 v6, v26, v35
	s_mov_b32 s7, 0xbb7b
	v_mul_f16_e32 v46, 0xb5ac, v39
	v_sub_f16_e32 v44, v8, v21
	v_fma_f16 v16, v6, s7, v46
	s_movk_i32 s12, 0x388b
	v_add_f16_e32 v38, v25, v34
	v_mul_f16_e32 v50, 0xba95, v44
	v_sub_f16_e32 v45, v9, v22
	v_add_f16_e32 v15, v15, v16
	v_fma_f16 v16, v38, s12, -v50
	s_mov_b32 s13, 0xb5ac
	v_add_f16_e32 v40, v26, v35
	v_mul_f16_e32 v51, 0xbb7b, v45
	v_add_f16_e32 v16, v24, v16
	v_fma_f16 v17, v40, s13, -v51
	s_mov_b32 s10, 0xbbf1
	v_mul_f16_e32 v56, 0x2fb7, v37
	v_add_f16_e32 v16, v16, v17
	v_fma_f16 v17, v5, s10, v56
	s_mov_b32 s11, 0xb3a8
	v_mul_f16_e32 v59, 0xbbc4, v39
	v_add_f16_e32 v17, v7, v17
	v_fma_f16 v18, v6, s11, v59
	s_movk_i32 s17, 0x2fb7
	v_mul_f16_e32 v65, 0xbbf1, v44
	v_add_f16_e32 v17, v17, v18
	v_fma_f16 v18, v38, s17, -v65
	s_mov_b32 s16, 0xbbc4
	v_mul_f16_e32 v67, 0xb3a8, v45
	v_add_f16_e32 v18, v24, v18
	v_fma_f16 v41, v40, s16, -v67
	v_add_f16_e32 v47, v10, v23
	v_add_f16_e32 v18, v18, v41
	v_sub_f16_e32 v41, v27, v36
	v_mul_f16_e32 v55, 0xbbc4, v47
	v_fma_f16 v43, v41, s11, v55
	v_sub_f16_e32 v53, v10, v23
	v_add_f16_e32 v15, v15, v43
	v_add_f16_e32 v43, v27, v36
	v_mul_f16_e32 v62, 0xb3a8, v53
	v_fma_f16 v48, v43, s16, -v62
	s_movk_i32 s18, 0x3b7b
	v_mul_f16_e32 v68, 0xb5ac, v47
	v_add_f16_e32 v16, v16, v48
	v_fma_f16 v48, v41, s18, v68
	v_mul_f16_e32 v71, 0x3b7b, v53
	v_add_f16_e32 v17, v17, v48
	v_fma_f16 v48, v43, s13, -v71
	v_add_f16_e32 v52, v11, v20
	v_add_f16_e32 v18, v18, v48
	s_movk_i32 s22, 0x394e
	v_sub_f16_e32 v48, v28, v33
	v_mul_f16_e32 v63, 0xb9fd, v52
	v_fma_f16 v49, v48, s22, v63
	v_sub_f16_e32 v60, v11, v20
	v_add_f16_e32 v15, v49, v15
	s_mov_b32 s19, 0xb9fd
	v_add_f16_e32 v49, v28, v33
	v_mul_f16_e32 v70, 0x394e, v60
	v_fma_f16 v54, v49, s19, -v70
	s_movk_i32 s24, 0x3770
	v_mul_f16_e32 v74, 0x3b15, v52
	v_add_f16_e32 v16, v54, v16
	v_fma_f16 v54, v48, s24, v74
	s_movk_i32 s23, 0x3b15
	v_mul_f16_e32 v77, 0x3770, v60
	v_add_f16_e32 v17, v54, v17
	v_fma_f16 v54, v49, s23, -v77
	v_add_f16_e32 v61, v12, v19
	v_add_f16_e32 v18, v54, v18
	s_movk_i32 s25, 0x3bf1
	v_sub_f16_e32 v54, v29, v32
	v_mul_f16_e32 v72, 0x2fb7, v61
	v_fma_f16 v57, v54, s25, v72
	v_sub_f16_e32 v69, v12, v19
	v_add_f16_e32 v15, v57, v15
	v_add_f16_e32 v57, v29, v32
	v_mul_f16_e32 v75, 0x3bf1, v69
	v_fma_f16 v58, v57, s17, -v75
	v_mul_f16_e32 v78, 0x388b, v61
	v_add_f16_e32 v16, v58, v16
	v_fma_f16 v58, v54, s6, v78
	v_mul_f16_e32 v80, 0xba95, v69
	v_add_f16_e32 v17, v58, v17
	v_fma_f16 v58, v57, s12, -v80
	v_add_f16_e32 v66, v13, v14
	v_add_f16_e32 v18, v58, v18
	v_sub_f16_e32 v58, v30, v31
	v_mul_f16_e32 v76, 0x3b15, v66
	v_fma_f16 v64, v58, s24, v76
	v_sub_f16_e32 v73, v13, v14
	v_add_f16_e32 v15, v64, v15
	v_add_f16_e32 v64, v30, v31
	v_mul_f16_e32 v79, 0x3770, v73
	v_fma_f16 v81, v64, s23, -v79
	v_add_f16_e32 v16, v81, v16
	s_mov_b32 s26, 0xb94e
	v_mul_f16_e32 v81, 0xb9fd, v66
	v_fma_f16 v82, v58, s26, v81
	v_add_f16_e32 v17, v82, v17
	v_mul_f16_e32 v82, 0xb94e, v73
	v_fma_f16 v83, v64, s19, -v82
	v_add_f16_e32 v18, v83, v18
	s_and_saveexec_b64 s[2:3], s[0:1]
	s_cbranch_execz .LBB0_13
; %bb.12:
	v_mul_f16_e32 v83, 0xbb7b, v44
	v_fma_f16 v84, v38, s13, -v83
	v_mul_f16_e32 v85, 0x394e, v45
	v_add_f16_e32 v84, v24, v84
	v_fma_f16 v86, v40, s19, -v85
	v_add_f16_e32 v84, v84, v86
	v_mul_f16_e32 v86, 0x3770, v53
	v_fma_f16 v87, v43, s23, -v86
	v_add_f16_e32 v84, v84, v87
	v_mul_f16_e32 v87, 0xbbf1, v60
	;; [unrolled: 3-line block ×5, first 2 shown]
	v_fma_f16 v91, v37, s13, v90
	v_mul_f16_e32 v92, 0x394e, v6
	v_add_f16_e32 v91, v7, v91
	v_fma_f16 v93, v39, s19, v92
	v_add_f16_e32 v91, v91, v93
	v_mul_f16_e32 v93, 0x3770, v41
	v_fma_f16 v94, v47, s23, v93
	v_add_f16_e32 v91, v91, v94
	v_mul_f16_e32 v94, 0xbbf1, v48
	;; [unrolled: 3-line block ×5, first 2 shown]
	v_fma_f16 v98, v38, s19, -v97
	v_mul_f16_e32 v99, 0x3bf1, v45
	v_add_f16_e32 v98, v24, v98
	v_fma_f16 v100, v40, s17, -v99
	v_add_f16_e32 v98, v98, v100
	v_mul_f16_e32 v100, 0xba95, v53
	v_fma_f16 v101, v43, s12, -v100
	v_add_f16_e32 v98, v98, v101
	v_mul_f16_e32 v101, 0x33a8, v60
	v_fma_f16 v102, v49, s16, -v101
	v_add_f16_e32 v98, v102, v98
	v_mul_f16_e32 v102, 0x3770, v69
	v_fma_f16 v103, v57, s23, -v102
	v_add_f16_e32 v98, v103, v98
	v_mul_f16_e32 v103, 0xbb7b, v73
	v_fma_f16 v104, v64, s13, -v103
	v_add_f16_e32 v98, v104, v98
	v_mul_f16_e32 v104, 0xb94e, v5
	v_fma_f16 v105, v37, s19, v104
	v_mul_f16_e32 v106, 0x3bf1, v6
	v_add_f16_e32 v105, v7, v105
	v_fma_f16 v107, v39, s17, v106
	v_add_f16_e32 v105, v105, v107
	v_mul_f16_e32 v107, 0xba95, v41
	v_fma_f16 v108, v47, s12, v107
	v_add_f16_e32 v105, v105, v108
	v_mul_f16_e32 v108, 0x33a8, v48
	;; [unrolled: 3-line block ×5, first 2 shown]
	v_fma_f16 v112, v38, s16, -v111
	v_mul_f16_e32 v113, 0x3770, v45
	v_add_f16_e32 v112, v24, v112
	v_fma_f16 v114, v40, s23, -v113
	v_add_f16_e32 v112, v112, v114
	v_mul_f16_e32 v114, 0xb94e, v53
	v_fma_f16 v115, v43, s19, -v114
	v_add_f16_e32 v112, v112, v115
	v_mul_f16_e32 v115, 0x3a95, v60
	;; [unrolled: 3-line block ×5, first 2 shown]
	v_fma_f16 v119, v37, s16, v118
	v_mul_f16_e32 v120, 0x3770, v6
	v_add_f16_e32 v119, v7, v119
	v_fma_f16 v121, v39, s23, v120
	v_add_f16_e32 v119, v119, v121
	v_mul_f16_e32 v121, 0xb94e, v41
	v_fma_f16 v111, v38, s16, v111
	v_fma_f16 v122, v47, s19, v121
	v_add_f16_e32 v111, v24, v111
	v_fma_f16 v113, v40, s23, v113
	v_add_f16_e32 v119, v119, v122
	v_mul_f16_e32 v122, 0x3a95, v48
	v_add_f16_e32 v111, v111, v113
	v_fma_f16 v113, v43, s19, v114
	v_fma_f16 v114, v37, s16, -v118
	v_fma_f16 v123, v52, s12, v122
	v_add_f16_e32 v111, v111, v113
	v_fma_f16 v113, v49, s12, v115
	v_add_f16_e32 v114, v7, v114
	v_fma_f16 v115, v39, s23, -v120
	v_add_f16_e32 v119, v123, v119
	v_mul_f16_e32 v123, 0xbb7b, v54
	v_add_f16_e32 v111, v113, v111
	v_fma_f16 v113, v57, s13, v116
	v_add_f16_e32 v114, v114, v115
	v_fma_f16 v116, v47, s19, -v121
	v_fma_f16 v97, v38, s19, v97
	v_fma_f16 v124, v61, s13, v123
	v_add_f16_e32 v111, v113, v111
	v_fma_f16 v113, v64, s17, v117
	v_add_f16_e32 v114, v114, v116
	v_fma_f16 v117, v52, s12, -v122
	v_add_f16_e32 v97, v24, v97
	v_fma_f16 v99, v40, s17, v99
	v_fma_f16 v83, v38, s13, v83
	v_add_f16_e32 v119, v124, v119
	v_mul_f16_e32 v124, 0x3bf1, v58
	v_add_f16_e32 v111, v113, v111
	v_mul_f16_e32 v113, 0xba95, v5
	v_add_f16_e32 v114, v117, v114
	v_fma_f16 v118, v61, s13, -v123
	v_add_f16_e32 v97, v97, v99
	v_fma_f16 v100, v43, s12, v100
	v_fma_f16 v104, v37, s19, -v104
	v_add_f16_e32 v83, v24, v83
	v_fma_f16 v85, v40, s19, v85
	v_mul_f16_e32 v115, 0x388b, v38
	v_add_f16_e32 v114, v118, v114
	v_mul_f16_e32 v118, 0xbb7b, v6
	v_fma_f16 v120, v66, s17, -v124
	v_add_f16_e32 v97, v97, v100
	v_fma_f16 v101, v49, s16, v101
	v_add_f16_e32 v104, v7, v104
	v_fma_f16 v106, v39, s17, -v106
	v_add_f16_e32 v83, v83, v85
	v_fma_f16 v86, v43, s23, v86
	v_sub_f16_e32 v42, v42, v113
	v_add_f16_e32 v114, v120, v114
	v_mul_f16_e32 v120, 0xb5ac, v40
	v_add_f16_e32 v97, v101, v97
	v_mul_f16_e32 v101, 0xb3a8, v41
	v_fma_f16 v102, v57, s23, v102
	v_add_f16_e32 v104, v104, v106
	v_fma_f16 v107, v47, s12, -v107
	v_add_f16_e32 v83, v83, v86
	v_fma_f16 v87, v49, s17, v87
	v_add_f16_e32 v50, v115, v50
	v_add_f16_e32 v42, v7, v42
	v_sub_f16_e32 v46, v46, v118
	v_add_f16_e32 v97, v102, v97
	v_mul_f16_e32 v102, 0xbbc4, v43
	v_add_f16_e32 v104, v104, v107
	v_mul_f16_e32 v107, 0x394e, v48
	v_fma_f16 v108, v52, s16, -v108
	v_add_f16_e32 v83, v87, v83
	v_fma_f16 v88, v57, s16, v88
	v_add_f16_e32 v50, v24, v50
	v_add_f16_e32 v51, v120, v51
	;; [unrolled: 1-line block ×3, first 2 shown]
	v_sub_f16_e32 v46, v55, v101
	v_add_f16_e32 v104, v108, v104
	v_mul_f16_e32 v108, 0xb9fd, v49
	v_mul_f16_e32 v85, 0x3bf1, v54
	v_add_f16_e32 v83, v88, v83
	v_fma_f16 v89, v64, s12, v89
	v_fma_f16 v90, v37, s13, -v90
	v_add_f16_e32 v50, v50, v51
	v_add_f16_e32 v51, v102, v62
	;; [unrolled: 1-line block ×3, first 2 shown]
	v_sub_f16_e32 v46, v63, v107
	v_mul_f16_e32 v86, 0x2fb7, v57
	v_add_f16_e32 v83, v89, v83
	v_mul_f16_e32 v89, 0x3770, v58
	v_add_f16_e32 v90, v7, v90
	v_fma_f16 v92, v39, s19, -v92
	v_add_f16_e32 v50, v50, v51
	v_add_f16_e32 v51, v108, v70
	;; [unrolled: 1-line block ×3, first 2 shown]
	v_sub_f16_e32 v46, v72, v85
	v_add_f16_e32 v90, v90, v92
	v_mul_f16_e32 v92, 0x3b15, v64
	v_add_f16_e32 v50, v51, v50
	v_add_f16_e32 v51, v86, v75
	;; [unrolled: 1-line block ×3, first 2 shown]
	v_sub_f16_e32 v46, v76, v89
	v_mul_f16_e32 v44, 0xb770, v44
	v_mul_f16_e32 v116, 0xbbf1, v5
	v_add_f16_e32 v50, v51, v50
	v_add_f16_e32 v51, v92, v79
	;; [unrolled: 1-line block ×3, first 2 shown]
	v_fma_f16 v46, v38, s23, v44
	v_mul_f16_e32 v45, 0xba95, v45
	v_mul_f16_e32 v99, 0xb3a8, v6
	v_fma_f16 v103, v64, s13, v103
	v_sub_f16_e32 v56, v56, v116
	v_add_f16_e32 v50, v51, v50
	v_add_f16_e32 v46, v24, v46
	v_fma_f16 v51, v40, s12, v45
	v_add_f16_e32 v97, v103, v97
	v_mul_f16_e32 v103, 0x3b7b, v41
	v_fma_f16 v109, v61, s23, -v109
	v_add_f16_e32 v56, v7, v56
	v_sub_f16_e32 v59, v59, v99
	v_add_f16_e32 v46, v46, v51
	v_mul_f16_e32 v51, 0xbbf1, v53
	v_add_f16_e32 v104, v109, v104
	v_mul_f16_e32 v109, 0x3770, v48
	v_add_f16_e32 v56, v56, v59
	v_sub_f16_e32 v59, v68, v103
	v_fma_f16 v53, v43, s17, v51
	v_mul_f16_e32 v87, 0xba95, v54
	v_fma_f16 v93, v47, s23, -v93
	v_add_f16_e32 v56, v56, v59
	v_sub_f16_e32 v59, v74, v109
	v_add_f16_e32 v46, v46, v53
	v_mul_f16_e32 v53, 0xbb7b, v60
	v_add_f16_e32 v90, v90, v93
	v_mul_f16_e32 v93, 0xb94e, v58
	v_add_f16_e32 v56, v59, v56
	v_sub_f16_e32 v59, v78, v87
	v_fma_f16 v55, v49, s13, v53
	v_add_f16_e32 v56, v59, v56
	v_sub_f16_e32 v59, v81, v93
	v_add_f16_e32 v46, v55, v46
	v_mul_f16_e32 v55, 0xb94e, v69
	v_add_f16_e32 v56, v59, v56
	v_fma_f16 v59, v57, s19, v55
	v_add_f16_e32 v46, v59, v46
	v_mul_f16_e32 v59, 0xb3a8, v73
	v_fma_f16 v60, v64, s16, v59
	v_mul_f16_e32 v37, 0x3b15, v37
	s_movk_i32 s1, 0x3a95
	s_mov_b32 s27, 0xb770
	v_add_f16_e32 v46, v60, v46
	v_fma_f16 v60, v5, s24, v37
	v_mul_f16_e32 v39, 0x388b, v39
	v_add_f16_e32 v60, v7, v60
	v_fma_f16 v62, v6, s1, v39
	v_mul_f16_e32 v47, 0x2fb7, v47
	v_fma_f16 v5, v5, s27, v37
	v_fma_f16 v94, v52, s17, -v94
	v_add_f16_e32 v60, v60, v62
	v_fma_f16 v62, v41, s25, v47
	v_mul_f16_e32 v52, 0xb5ac, v52
	v_add_f16_e32 v5, v7, v5
	v_fma_f16 v6, v6, s6, v39
	v_fma_f16 v95, v61, s16, -v95
	v_add_f16_e32 v60, v60, v62
	v_fma_f16 v62, v48, s18, v52
	v_mul_f16_e32 v61, 0xb9fd, v61
	v_add_f16_e32 v5, v5, v6
	v_fma_f16 v6, v41, s10, v47
	v_add_f16_e32 v60, v62, v60
	v_fma_f16 v62, v54, s22, v61
	;; [unrolled: 2-line block ×3, first 2 shown]
	v_add_f16_e32 v60, v62, v60
	v_mul_f16_e32 v62, 0xbbc4, v66
	v_add_f16_e32 v5, v6, v5
	v_fma_f16 v6, v54, s26, v61
	v_add_f16_e32 v5, v6, v5
	v_fma_f16 v6, v58, s11, v62
	v_add_f16_e32 v5, v6, v5
	v_add_f16_e32 v6, v24, v25
	;; [unrolled: 1-line block ×13, first 2 shown]
	v_mul_f16_e32 v117, 0x2fb7, v38
	v_add_f16_e32 v6, v6, v31
	v_add_f16_e32 v7, v7, v14
	v_mul_f16_e32 v100, 0xbbc4, v40
	v_add_f16_e32 v65, v117, v65
	v_add_f16_e32 v6, v6, v32
	;; [unrolled: 1-line block ×3, first 2 shown]
	v_mul_f16_e32 v106, 0xb5ac, v43
	v_fma_f16 v110, v66, s13, -v110
	v_add_f16_e32 v65, v24, v65
	v_add_f16_e32 v67, v100, v67
	;; [unrolled: 1-line block ×5, first 2 shown]
	v_mul_f16_e32 v110, 0x3b15, v49
	v_add_f16_e32 v65, v65, v67
	v_add_f16_e32 v67, v106, v71
	v_add_f16_e32 v6, v6, v36
	v_add_f16_e32 v7, v7, v23
	v_mul_f16_e32 v88, 0x388b, v57
	s_movk_i32 s0, 0x33a8
	v_add_f16_e32 v65, v65, v67
	v_add_f16_e32 v67, v110, v77
	v_add_f16_e32 v6, v35, v6
	v_add_f16_e32 v7, v22, v7
	v_add_f16_e32 v90, v94, v90
	v_mul_f16_e32 v94, 0xb9fd, v64
	v_add_f16_e32 v65, v67, v65
	v_add_f16_e32 v67, v88, v80
	v_fma_f16 v63, v58, s0, v62
	v_fma_f16 v38, v38, s23, -v44
	v_add_f16_sdwa v6, v34, v6 dst_sel:WORD_1 dst_unused:UNUSED_PAD src0_sel:DWORD src1_sel:DWORD
	v_add_f16_e32 v7, v21, v7
	v_add_f16_e32 v90, v95, v90
	v_fma_f16 v95, v66, s12, -v96
	v_add_f16_e32 v65, v67, v65
	v_add_f16_e32 v67, v94, v82
	;; [unrolled: 1-line block ×4, first 2 shown]
	v_fma_f16 v40, v40, s12, -v45
	v_or_b32_e32 v6, v6, v7
	v_mad_u32_u24 v7, v0, 52, 0
	v_add_f16_e32 v90, v95, v90
	v_add_f16_e32 v65, v67, v65
	;; [unrolled: 1-line block ×3, first 2 shown]
	v_fma_f16 v40, v43, s17, -v51
	ds_write_b32 v7, v6
	v_pack_b32_f16 v6, v42, v50
	v_pack_b32_f16 v8, v60, v46
	v_fma_f16 v125, v66, s17, v124
	v_add_f16_e32 v38, v38, v40
	v_fma_f16 v40, v49, s13, -v53
	ds_write2_b32 v7, v8, v6 offset0:1 offset1:2
	v_pack_b32_f16 v6, v56, v65
	v_pack_b32_f16 v8, v90, v83
	v_add_f16_e32 v119, v125, v119
	v_add_f16_e32 v38, v40, v38
	v_fma_f16 v40, v57, s19, -v55
	ds_write2_b32 v7, v6, v8 offset0:3 offset1:4
	v_pack_b32_f16 v6, v114, v111
	v_pack_b32_f16 v8, v104, v97
	v_add_f16_e32 v38, v40, v38
	v_fma_f16 v40, v64, s16, -v59
	ds_write2_b32 v7, v8, v6 offset0:5 offset1:6
	v_pack_b32_f16 v6, v105, v98
	v_pack_b32_f16 v8, v119, v112
	s_mov_b32 s0, 0x5040100
	v_add_f16_e32 v38, v40, v38
	ds_write2_b32 v7, v8, v6 offset0:7 offset1:8
	v_pack_b32_f16 v6, v91, v84
	v_perm_b32 v8, v18, v17, s0
	ds_write2_b32 v7, v6, v8 offset0:9 offset1:10
	v_pack_b32_f16 v5, v5, v38
	v_perm_b32 v6, v16, v15, s0
	ds_write2_b32 v7, v6, v5 offset0:11 offset1:12
.LBB0_13:
	s_or_b64 exec, exec, s[2:3]
	s_movk_i32 s0, 0x4f
	v_add_u32_e32 v21, 0x9c, v0
	v_mul_lo_u16_sdwa v25, v0, s0 dst_sel:DWORD dst_unused:UNUSED_PAD src0_sel:BYTE_0 src1_sel:DWORD
	s_movk_i32 s0, 0x4ec5
	v_add_u32_e32 v20, 0x138, v0
	v_mul_u32_u24_sdwa v27, v21, s0 dst_sel:DWORD dst_unused:UNUSED_PAD src0_sel:WORD_0 src1_sel:DWORD
	v_add_u32_e32 v19, 0x1d4, v0
	v_lshrrev_b32_e32 v28, 18, v27
	v_mul_u32_u24_sdwa v29, v20, s0 dst_sel:DWORD dst_unused:UNUSED_PAD src0_sel:WORD_0 src1_sel:DWORD
	v_add_u32_e32 v24, 0x270, v0
	v_mul_lo_u16_e32 v6, 13, v28
	v_lshrrev_b32_e32 v30, 18, v29
	v_mul_u32_u24_sdwa v31, v19, s0 dst_sel:DWORD dst_unused:UNUSED_PAD src0_sel:WORD_0 src1_sel:DWORD
	v_sub_u16_e32 v7, v21, v6
	v_mul_lo_u16_e32 v6, 13, v30
	v_lshrrev_b32_e32 v32, 18, v31
	v_mul_u32_u24_sdwa v33, v24, s0 dst_sel:DWORD dst_unused:UNUSED_PAD src0_sel:WORD_0 src1_sel:DWORD
	v_sub_u16_e32 v8, v20, v6
	v_mul_lo_u16_e32 v6, 13, v32
	v_lshrrev_b32_e32 v34, 18, v33
	v_lshrrev_b16_e32 v26, 10, v25
	v_sub_u16_e32 v9, v19, v6
	v_mul_lo_u16_e32 v6, 13, v34
	v_mul_lo_u16_e32 v5, 13, v26
	v_sub_u16_e32 v10, v24, v6
	v_sub_u16_e32 v5, v0, v5
	v_mov_b32_e32 v6, 2
	v_lshlrev_b32_e32 v39, 2, v10
	s_load_dwordx2 s[2:3], s[4:5], 0x0
	s_waitcnt lgkmcnt(0)
	s_barrier
	v_lshlrev_b32_sdwa v35, v6, v5 dst_sel:DWORD dst_unused:UNUSED_PAD src0_sel:DWORD src1_sel:BYTE_0
	v_lshlrev_b32_e32 v36, 2, v7
	v_lshlrev_b32_e32 v37, 2, v8
	;; [unrolled: 1-line block ×3, first 2 shown]
	global_load_dword v40, v39, s[8:9]
	global_load_dword v41, v38, s[8:9]
	;; [unrolled: 1-line block ×5, first 2 shown]
	v_lshl_add_u32 v5, v0, 2, 0
	v_add_u32_e32 v45, 0x900, v5
	ds_read2_b32 v[7:8], v5 offset1:156
	v_add_u32_e32 v46, 0xe00, v5
	v_add_u32_e32 v47, 0x400, v5
	;; [unrolled: 1-line block ×3, first 2 shown]
	ds_read2_b32 v[9:10], v45 offset0:48 offset1:204
	ds_read2_b32 v[11:12], v46 offset0:40 offset1:196
	;; [unrolled: 1-line block ×4, first 2 shown]
	v_mul_u32_u24_e32 v26, 0x68, v26
	v_mul_u32_u24_e32 v28, 0x68, v28
	;; [unrolled: 1-line block ×5, first 2 shown]
	v_add3_u32 v26, 0, v26, v35
	v_add3_u32 v28, 0, v28, v36
	v_add3_u32 v30, 0, v30, v37
	v_add3_u32 v32, 0, v32, v38
	v_add3_u32 v34, 0, v34, v39
	s_mov_b32 s0, 0xffff
	s_waitcnt vmcnt(0) lgkmcnt(0)
	s_barrier
	s_mov_b32 s5, 0xbb9c
	s_movk_i32 s1, 0x38b4
	s_mov_b32 s6, 0xb8b4
	s_movk_i32 s4, 0x34f2
	s_movk_i32 s7, 0x3a79
	v_pk_mul_f16 v35, v40, v23 op_sel:[0,1]
	v_pk_mul_f16 v36, v41, v22 op_sel:[0,1]
	;; [unrolled: 1-line block ×5, first 2 shown]
	v_pk_fma_f16 v49, v40, v23, v35 op_sel:[0,0,1] op_sel_hi:[1,1,0] neg_lo:[0,0,1] neg_hi:[0,0,1]
	v_pk_fma_f16 v23, v40, v23, v35 op_sel:[0,0,1] op_sel_hi:[1,0,0]
	v_pk_fma_f16 v35, v41, v22, v36 op_sel:[0,0,1] op_sel_hi:[1,1,0] neg_lo:[0,0,1] neg_hi:[0,0,1]
	v_pk_fma_f16 v22, v41, v22, v36 op_sel:[0,0,1] op_sel_hi:[1,0,0]
	;; [unrolled: 2-line block ×5, first 2 shown]
	v_bfi_b32 v10, s0, v38, v10
	v_bfi_b32 v23, s0, v49, v23
	;; [unrolled: 1-line block ×5, first 2 shown]
	v_pk_add_f16 v10, v7, v10 neg_lo:[0,1] neg_hi:[0,1]
	v_pk_add_f16 v23, v9, v23 neg_lo:[0,1] neg_hi:[0,1]
	;; [unrolled: 1-line block ×5, first 2 shown]
	v_pk_fma_f16 v7, v7, 2.0, v10 op_sel_hi:[1,0,1] neg_lo:[0,0,1] neg_hi:[0,0,1]
	v_pk_fma_f16 v9, v9, 2.0, v23 op_sel_hi:[1,0,1] neg_lo:[0,0,1] neg_hi:[0,0,1]
	;; [unrolled: 1-line block ×5, first 2 shown]
	ds_write2_b32 v26, v7, v10 offset1:13
	ds_write2_b32 v28, v8, v11 offset1:13
	;; [unrolled: 1-line block ×5, first 2 shown]
	v_lshrrev_b32_e32 v22, 19, v33
	v_lshrrev_b16_e32 v7, 11, v25
	v_lshrrev_b32_e32 v9, 19, v27
	v_lshrrev_b32_e32 v11, 19, v29
	;; [unrolled: 1-line block ×3, first 2 shown]
	v_mul_lo_u16_e32 v23, 26, v22
	v_mul_lo_u16_e32 v8, 26, v7
	;; [unrolled: 1-line block ×5, first 2 shown]
	v_sub_u16_e32 v23, v24, v23
	v_sub_u16_e32 v8, v0, v8
	;; [unrolled: 1-line block ×5, first 2 shown]
	v_lshlrev_b32_e32 v23, 2, v23
	s_waitcnt lgkmcnt(0)
	s_barrier
	v_lshlrev_b32_sdwa v8, v6, v8 dst_sel:DWORD dst_unused:UNUSED_PAD src0_sel:DWORD src1_sel:BYTE_0
	v_lshlrev_b32_e32 v10, 2, v10
	v_lshlrev_b32_e32 v12, 2, v12
	v_lshlrev_b32_e32 v14, 2, v14
	global_load_dword v24, v23, s[8:9] offset:52
	global_load_dword v26, v14, s[8:9] offset:52
	;; [unrolled: 1-line block ×5, first 2 shown]
	v_mul_u32_u24_e32 v7, 0xd0, v7
	v_mul_u32_u24_e32 v9, 0xd0, v9
	;; [unrolled: 1-line block ×5, first 2 shown]
	v_add3_u32 v30, 0, v7, v8
	v_add3_u32 v31, 0, v9, v10
	;; [unrolled: 1-line block ×5, first 2 shown]
	ds_read2_b32 v[7:8], v5 offset1:156
	ds_read2_b32 v[9:10], v45 offset0:48 offset1:204
	ds_read2_b32 v[11:12], v46 offset0:40 offset1:196
	ds_read2_b32 v[13:14], v48 offset0:96 offset1:252
	ds_read2_b32 v[22:23], v47 offset0:56 offset1:212
	s_waitcnt vmcnt(0) lgkmcnt(0)
	s_barrier
	v_pk_mul_f16 v35, v24, v14 op_sel:[0,1]
	v_pk_mul_f16 v36, v26, v13 op_sel:[0,1]
	;; [unrolled: 1-line block ×5, first 2 shown]
	v_pk_fma_f16 v40, v24, v14, v35 op_sel:[0,0,1] op_sel_hi:[1,1,0] neg_lo:[0,0,1] neg_hi:[0,0,1]
	v_pk_fma_f16 v14, v24, v14, v35 op_sel:[0,0,1] op_sel_hi:[1,0,0]
	v_pk_fma_f16 v24, v26, v13, v36 op_sel:[0,0,1] op_sel_hi:[1,1,0] neg_lo:[0,0,1] neg_hi:[0,0,1]
	v_pk_fma_f16 v13, v26, v13, v36 op_sel:[0,0,1] op_sel_hi:[1,0,0]
	;; [unrolled: 2-line block ×5, first 2 shown]
	v_bfi_b32 v10, s0, v28, v10
	v_bfi_b32 v14, s0, v40, v14
	;; [unrolled: 1-line block ×5, first 2 shown]
	v_pk_add_f16 v10, v7, v10 neg_lo:[0,1] neg_hi:[0,1]
	v_pk_add_f16 v14, v9, v14 neg_lo:[0,1] neg_hi:[0,1]
	;; [unrolled: 1-line block ×5, first 2 shown]
	v_pk_fma_f16 v7, v7, 2.0, v10 op_sel_hi:[1,0,1] neg_lo:[0,0,1] neg_hi:[0,0,1]
	v_pk_fma_f16 v9, v9, 2.0, v14 op_sel_hi:[1,0,1] neg_lo:[0,0,1] neg_hi:[0,0,1]
	;; [unrolled: 1-line block ×5, first 2 shown]
	ds_write2_b32 v30, v7, v10 offset1:26
	ds_write2_b32 v31, v8, v11 offset1:26
	;; [unrolled: 1-line block ×5, first 2 shown]
	v_lshrrev_b16_e32 v32, 12, v25
	v_mul_lo_u16_e32 v7, 52, v32
	v_sub_u16_e32 v33, v0, v7
	v_mov_b32_e32 v7, 9
	v_mul_u32_u24_sdwa v7, v33, v7 dst_sel:DWORD dst_unused:UNUSED_PAD src0_sel:BYTE_0 src1_sel:DWORD
	v_lshlrev_b32_e32 v22, 2, v7
	s_waitcnt lgkmcnt(0)
	s_barrier
	global_load_dwordx4 v[7:10], v22, s[8:9] offset:156
	global_load_dwordx4 v[11:14], v22, s[8:9] offset:172
	global_load_dword v34, v22, s[8:9] offset:188
	ds_read2_b32 v[22:23], v5 offset1:156
	ds_read2_b32 v[24:25], v46 offset0:40 offset1:196
	ds_read2_b32 v[26:27], v47 offset0:56 offset1:212
	;; [unrolled: 1-line block ×4, first 2 shown]
	s_waitcnt lgkmcnt(4)
	v_lshrrev_b32_e32 v40, 16, v23
	s_waitcnt lgkmcnt(3)
	v_lshrrev_b32_e32 v36, 16, v24
	v_lshrrev_b32_e32 v37, 16, v25
	s_waitcnt lgkmcnt(1)
	v_lshrrev_b32_e32 v38, 16, v28
	s_waitcnt lgkmcnt(0)
	v_lshrrev_b32_e32 v43, 16, v30
	v_lshrrev_b32_e32 v41, 16, v26
	;; [unrolled: 1-line block ×3, first 2 shown]
	s_movk_i32 s0, 0x3b9c
	v_lshrrev_b32_e32 v42, 16, v27
	v_lshrrev_b32_e32 v35, 16, v22
	;; [unrolled: 1-line block ×3, first 2 shown]
	v_lshlrev_b32_sdwa v6, v6, v33 dst_sel:DWORD dst_unused:UNUSED_PAD src0_sel:DWORD src1_sel:BYTE_0
	s_waitcnt vmcnt(0)
	s_barrier
	v_mul_f16_sdwa v51, v10, v43 dst_sel:DWORD dst_unused:UNUSED_PAD src0_sel:WORD_1 src1_sel:DWORD
	v_mul_f16_sdwa v55, v36, v12 dst_sel:DWORD dst_unused:UNUSED_PAD src0_sel:DWORD src1_sel:WORD_1
	v_mul_f16_sdwa v47, v8, v41 dst_sel:DWORD dst_unused:UNUSED_PAD src0_sel:WORD_1 src1_sel:DWORD
	v_mul_f16_sdwa v48, v8, v26 dst_sel:DWORD dst_unused:UNUSED_PAD src0_sel:WORD_1 src1_sel:DWORD
	;; [unrolled: 1-line block ×3, first 2 shown]
	v_mul_f16_sdwa v56, v24, v12 dst_sel:DWORD dst_unused:UNUSED_PAD src0_sel:DWORD src1_sel:WORD_1
	v_mul_f16_sdwa v57, v37, v13 dst_sel:DWORD dst_unused:UNUSED_PAD src0_sel:DWORD src1_sel:WORD_1
	;; [unrolled: 1-line block ×5, first 2 shown]
	v_fma_f16 v30, v10, v30, -v51
	v_fma_f16 v24, v24, v12, -v55
	v_mul_f16_sdwa v45, v7, v40 dst_sel:DWORD dst_unused:UNUSED_PAD src0_sel:WORD_1 src1_sel:DWORD
	v_mul_f16_sdwa v46, v7, v23 dst_sel:DWORD dst_unused:UNUSED_PAD src0_sel:WORD_1 src1_sel:DWORD
	v_fma_f16 v26, v8, v26, -v47
	v_fma_f16 v8, v8, v41, v48
	v_fma_f16 v25, v25, v13, -v57
	v_fma_f16 v13, v37, v13, v58
	;; [unrolled: 2-line block ×3, first 2 shown]
	v_add_f16_e32 v37, v30, v24
	v_mul_f16_sdwa v61, v39, v34 dst_sel:DWORD dst_unused:UNUSED_PAD src0_sel:DWORD src1_sel:WORD_1
	v_mul_f16_sdwa v62, v29, v34 dst_sel:DWORD dst_unused:UNUSED_PAD src0_sel:DWORD src1_sel:WORD_1
	v_fma_f16 v23, v7, v23, -v45
	v_fma_f16 v7, v7, v40, v46
	v_fma_f16 v10, v10, v43, v52
	;; [unrolled: 1-line block ×3, first 2 shown]
	v_sub_f16_e32 v38, v8, v14
	v_sub_f16_e32 v40, v26, v30
	;; [unrolled: 1-line block ×3, first 2 shown]
	v_fma_f16 v37, v37, -0.5, v22
	v_fma_f16 v29, v29, v34, -v61
	v_fma_f16 v34, v39, v34, v62
	v_sub_f16_e32 v39, v10, v12
	v_add_f16_e32 v40, v40, v41
	v_fma_f16 v41, v38, s0, v37
	v_fma_f16 v37, v38, s5, v37
	;; [unrolled: 1-line block ×6, first 2 shown]
	v_add_f16_e32 v40, v26, v28
	v_mul_f16_sdwa v49, v9, v42 dst_sel:DWORD dst_unused:UNUSED_PAD src0_sel:WORD_1 src1_sel:DWORD
	v_mul_f16_sdwa v50, v9, v27 dst_sel:DWORD dst_unused:UNUSED_PAD src0_sel:WORD_1 src1_sel:DWORD
	v_add_f16_e32 v36, v22, v26
	v_fma_f16 v22, v40, -0.5, v22
	v_fma_f16 v27, v9, v27, -v49
	v_fma_f16 v9, v9, v42, v50
	v_add_f16_e32 v36, v36, v30
	v_fma_f16 v40, v39, s5, v22
	v_sub_f16_e32 v42, v30, v26
	v_sub_f16_e32 v43, v24, v28
	v_fma_f16 v22, v39, s0, v22
	v_add_f16_e32 v39, v10, v12
	v_add_f16_e32 v36, v36, v24
	v_fma_f16 v40, v38, s1, v40
	v_add_f16_e32 v42, v42, v43
	v_fma_f16 v22, v38, s6, v22
	v_fma_f16 v39, v39, -0.5, v35
	v_sub_f16_e32 v26, v26, v28
	v_add_f16_e32 v36, v36, v28
	v_fma_f16 v40, v42, s4, v40
	v_fma_f16 v22, v42, s4, v22
	;; [unrolled: 1-line block ×3, first 2 shown]
	v_sub_f16_e32 v24, v30, v24
	v_sub_f16_e32 v30, v8, v10
	;; [unrolled: 1-line block ×3, first 2 shown]
	v_fma_f16 v39, v26, s0, v39
	v_add_f16_e32 v38, v35, v8
	v_fma_f16 v28, v24, s6, v28
	v_add_f16_e32 v30, v30, v42
	v_fma_f16 v39, v24, s1, v39
	v_mul_f16_sdwa v53, v11, v44 dst_sel:DWORD dst_unused:UNUSED_PAD src0_sel:WORD_1 src1_sel:DWORD
	v_add_f16_e32 v38, v38, v10
	v_fma_f16 v28, v30, s4, v28
	v_fma_f16 v30, v30, s4, v39
	v_add_f16_e32 v39, v8, v14
	v_mul_f16_sdwa v54, v11, v31 dst_sel:DWORD dst_unused:UNUSED_PAD src0_sel:WORD_1 src1_sel:DWORD
	v_fma_f16 v31, v11, v31, -v53
	v_add_f16_e32 v38, v38, v12
	v_fma_f16 v35, v39, -0.5, v35
	v_add_f16_e32 v38, v38, v14
	v_fma_f16 v39, v24, s0, v35
	v_sub_f16_e32 v8, v10, v8
	v_sub_f16_e32 v10, v12, v14
	v_add_f16_e32 v14, v31, v25
	v_fma_f16 v11, v11, v44, v54
	v_fma_f16 v39, v26, s6, v39
	v_add_f16_e32 v8, v8, v10
	v_fma_f16 v12, v24, s5, v35
	v_fma_f16 v14, v14, -0.5, v23
	v_sub_f16_e32 v24, v9, v34
	v_fma_f16 v10, v8, s4, v39
	v_fma_f16 v12, v26, s1, v12
	;; [unrolled: 1-line block ×3, first 2 shown]
	v_sub_f16_e32 v35, v11, v13
	v_sub_f16_e32 v39, v27, v31
	;; [unrolled: 1-line block ×3, first 2 shown]
	v_fma_f16 v14, v24, s5, v14
	v_fma_f16 v26, v35, s1, v26
	v_add_f16_e32 v39, v39, v42
	v_fma_f16 v14, v35, s6, v14
	v_fma_f16 v26, v39, s4, v26
	;; [unrolled: 1-line block ×3, first 2 shown]
	v_add_f16_e32 v39, v27, v29
	v_fma_f16 v8, v8, s4, v12
	v_add_f16_e32 v12, v23, v27
	v_fma_f16 v23, v39, -0.5, v23
	v_add_f16_e32 v12, v12, v31
	v_fma_f16 v39, v35, s5, v23
	v_sub_f16_e32 v42, v31, v27
	v_sub_f16_e32 v43, v25, v29
	v_fma_f16 v23, v35, s0, v23
	v_add_f16_e32 v35, v11, v13
	v_add_f16_e32 v12, v12, v25
	v_fma_f16 v39, v24, s1, v39
	v_add_f16_e32 v42, v42, v43
	v_fma_f16 v23, v24, s6, v23
	v_fma_f16 v35, v35, -0.5, v7
	v_sub_f16_e32 v27, v27, v29
	v_add_f16_e32 v12, v12, v29
	v_fma_f16 v39, v42, s4, v39
	v_fma_f16 v23, v42, s4, v23
	;; [unrolled: 1-line block ×3, first 2 shown]
	v_sub_f16_e32 v25, v31, v25
	v_sub_f16_e32 v31, v9, v11
	;; [unrolled: 1-line block ×3, first 2 shown]
	v_fma_f16 v35, v27, s0, v35
	v_fma_f16 v29, v25, s6, v29
	v_add_f16_e32 v31, v31, v42
	v_fma_f16 v35, v25, s1, v35
	v_fma_f16 v29, v31, s4, v29
	;; [unrolled: 1-line block ×3, first 2 shown]
	v_add_f16_e32 v35, v9, v34
	v_add_f16_e32 v24, v7, v9
	v_fma_f16 v7, v35, -0.5, v7
	v_add_f16_e32 v24, v24, v11
	v_fma_f16 v35, v25, s0, v7
	v_sub_f16_e32 v9, v11, v9
	v_sub_f16_e32 v11, v13, v34
	v_fma_f16 v7, v25, s5, v7
	v_fma_f16 v35, v27, s6, v35
	v_add_f16_e32 v9, v9, v11
	v_fma_f16 v7, v27, s1, v7
	v_add_f16_e32 v24, v24, v13
	v_fma_f16 v11, v9, s4, v35
	v_fma_f16 v7, v9, s4, v7
	v_mul_f16_e32 v13, 0x38b4, v29
	v_mul_f16_e32 v35, 0x34f2, v23
	v_fma_f16 v13, v26, s7, v13
	v_mul_f16_e32 v27, 0x3b9c, v11
	v_fma_f16 v35, v7, s0, -v35
	v_mul_f16_e32 v26, 0xb8b4, v26
	v_mul_f16_e32 v7, 0x34f2, v7
	v_add_f16_e32 v24, v24, v34
	v_fma_f16 v27, v39, s4, v27
	v_fma_f16 v26, v29, s7, v26
	v_mul_f16_e32 v39, 0xbb9c, v39
	v_fma_f16 v7, v23, s5, -v7
	v_add_f16_e32 v9, v36, v12
	v_add_f16_e32 v25, v41, v13
	v_mul_f16_e32 v43, 0x3a79, v14
	v_add_f16_e32 v45, v38, v24
	v_add_f16_e32 v29, v28, v26
	v_fma_f16 v11, v11, s4, v39
	v_add_f16_e32 v46, v8, v7
	v_mul_f16_e32 v23, 0x3a79, v31
	v_sub_f16_e32 v7, v8, v7
	v_mul_u32_u24_e32 v8, 0x820, v32
	v_add_f16_e32 v34, v40, v27
	v_add_f16_e32 v42, v22, v35
	v_fma_f16 v43, v31, s1, -v43
	v_add_f16_e32 v39, v10, v11
	v_fma_f16 v14, v14, s6, -v23
	v_add3_u32 v6, 0, v8, v6
	v_pack_b32_f16 v8, v9, v45
	v_pack_b32_f16 v9, v25, v29
	v_add_f16_e32 v44, v37, v43
	v_add_f16_e32 v31, v30, v14
	v_sub_f16_e32 v12, v36, v12
	v_sub_f16_e32 v24, v38, v24
	ds_write2_b32 v6, v8, v9 offset1:52
	v_pack_b32_f16 v8, v34, v39
	v_pack_b32_f16 v9, v42, v46
	v_sub_f16_e32 v13, v41, v13
	v_sub_f16_e32 v27, v40, v27
	;; [unrolled: 1-line block ×4, first 2 shown]
	ds_write2_b32 v6, v8, v9 offset0:104 offset1:156
	v_pack_b32_f16 v8, v44, v31
	v_pack_b32_f16 v9, v12, v24
	v_add_u32_e32 v11, 0x200, v6
	v_sub_f16_e32 v35, v22, v35
	v_sub_f16_e32 v22, v37, v43
	;; [unrolled: 1-line block ×3, first 2 shown]
	ds_write2_b32 v11, v8, v9 offset0:80 offset1:132
	v_pack_b32_f16 v8, v13, v26
	v_pack_b32_f16 v9, v27, v10
	v_add_u32_e32 v6, 0x400, v6
	ds_write2_b32 v6, v8, v9 offset0:56 offset1:108
	v_pack_b32_f16 v7, v35, v7
	v_pack_b32_f16 v8, v22, v23
	ds_write2_b32 v6, v7, v8 offset0:160 offset1:212
	v_add_u32_e32 v6, 0x480, v5
	s_waitcnt lgkmcnt(0)
	s_barrier
	ds_read2_b32 v[11:12], v6 offset0:24 offset1:232
	v_add_u32_e32 v6, 0x1000, v5
	ds_read2_b32 v[9:10], v6 offset0:16 offset1:172
	v_add_u32_e32 v6, 0xa00, v5
	ds_read2_b32 v[7:8], v5 offset1:156
	ds_read2_b32 v[13:14], v6 offset0:36 offset1:192
	ds_read_b32 v24, v5 offset:5408
	v_cmp_gt_u32_e64 s[0:1], 52, v0
	s_and_saveexec_b64 s[4:5], s[0:1]
	s_cbranch_execz .LBB0_15
; %bb.14:
	ds_read_b32 v22, v5 offset:1872
	ds_read_b32 v15, v5 offset:6032
	;; [unrolled: 1-line block ×3, first 2 shown]
	s_waitcnt lgkmcnt(2)
	v_lshrrev_b32_e32 v23, 16, v22
	s_waitcnt lgkmcnt(1)
	v_lshrrev_b32_e32 v16, 16, v15
	;; [unrolled: 2-line block ×3, first 2 shown]
.LBB0_15:
	s_or_b64 exec, exec, s[4:5]
	s_and_saveexec_b64 s[4:5], vcc
	s_cbranch_execz .LBB0_18
; %bb.16:
	v_lshlrev_b32_e32 v5, 1, v20
	v_mov_b32_e32 v6, 0
	v_lshlrev_b64 v[25:26], 2, v[5:6]
	v_lshlrev_b32_e32 v5, 1, v21
	v_mov_b32_e32 v31, s9
	v_add_co_u32_e32 v25, vcc, s8, v25
	v_lshlrev_b64 v[27:28], 2, v[5:6]
	v_addc_co_u32_e32 v26, vcc, v31, v26, vcc
	v_add_co_u32_e32 v27, vcc, s8, v27
	global_load_dwordx2 v[25:26], v[25:26], off offset:2028
	v_addc_co_u32_e32 v28, vcc, v31, v28, vcc
	global_load_dwordx2 v[27:28], v[27:28], off offset:2028
	v_lshlrev_b32_e32 v5, 1, v0
	v_lshlrev_b64 v[29:30], 2, v[5:6]
	v_mul_lo_u32 v33, s3, v3
	v_add_co_u32_e32 v29, vcc, s8, v29
	v_addc_co_u32_e32 v30, vcc, v31, v30, vcc
	global_load_dwordx2 v[29:30], v[29:30], off offset:2028
	v_mul_lo_u32 v34, s2, v4
	v_mad_u64_u32 v[3:4], s[2:3], s2, v3, 0
	s_waitcnt lgkmcnt(1)
	v_lshrrev_b32_e32 v35, 16, v14
	s_waitcnt lgkmcnt(0)
	v_lshrrev_b32_e32 v36, 16, v24
	v_lshrrev_b32_e32 v37, 16, v13
	;; [unrolled: 1-line block ×3, first 2 shown]
	v_add3_u32 v4, v4, v34, v33
	v_lshrrev_b32_e32 v32, 16, v11
	v_lshrrev_b32_e32 v31, 16, v8
	s_movk_i32 s2, 0x3aee
	s_mov_b32 s3, 0xbaee
	v_lshrrev_b32_e32 v39, 16, v12
	v_lshrrev_b32_e32 v40, 16, v9
	v_lshrrev_b32_e32 v5, 16, v7
	v_lshlrev_b64 v[3:4], 2, v[3:4]
	v_lshlrev_b64 v[1:2], 2, v[1:2]
	s_movk_i32 s6, 0x410
	s_waitcnt vmcnt(2)
	v_mul_f16_sdwa v33, v25, v35 dst_sel:DWORD dst_unused:UNUSED_PAD src0_sel:WORD_1 src1_sel:DWORD
	v_mul_f16_sdwa v34, v26, v36 dst_sel:DWORD dst_unused:UNUSED_PAD src0_sel:WORD_1 src1_sel:DWORD
	;; [unrolled: 1-line block ×4, first 2 shown]
	v_fma_f16 v14, v25, v14, -v33
	v_fma_f16 v24, v26, v24, -v34
	v_fma_f16 v25, v25, v35, v41
	v_fma_f16 v26, v26, v36, v42
	s_waitcnt vmcnt(1)
	v_mul_f16_sdwa v33, v27, v37 dst_sel:DWORD dst_unused:UNUSED_PAD src0_sel:WORD_1 src1_sel:DWORD
	v_mul_f16_sdwa v34, v28, v38 dst_sel:DWORD dst_unused:UNUSED_PAD src0_sel:WORD_1 src1_sel:DWORD
	;; [unrolled: 1-line block ×4, first 2 shown]
	v_add_f16_e32 v42, v25, v26
	v_sub_f16_e32 v44, v25, v26
	v_add_f16_e32 v25, v32, v25
	v_fma_f16 v13, v27, v13, -v33
	v_fma_f16 v10, v28, v10, -v34
	v_fma_f16 v27, v27, v37, v35
	v_fma_f16 v28, v28, v38, v36
	v_sub_f16_e32 v41, v14, v24
	v_add_f16_e32 v43, v14, v24
	v_add_f16_e32 v14, v11, v14
	;; [unrolled: 1-line block ×6, first 2 shown]
	v_sub_f16_e32 v24, v13, v10
	v_sub_f16_e32 v37, v27, v28
	v_add_f16_e32 v27, v31, v27
	v_add_f16_e32 v13, v8, v13
	v_fma_f16 v26, v26, -0.5, v31
	v_fma_f16 v8, v36, -0.5, v8
	s_waitcnt vmcnt(0)
	v_mul_f16_sdwa v33, v29, v39 dst_sel:DWORD dst_unused:UNUSED_PAD src0_sel:WORD_1 src1_sel:DWORD
	v_mul_f16_sdwa v34, v30, v40 dst_sel:DWORD dst_unused:UNUSED_PAD src0_sel:WORD_1 src1_sel:DWORD
	;; [unrolled: 1-line block ×3, first 2 shown]
	v_add_f16_e32 v27, v27, v28
	v_fma_f16 v28, v24, s2, v26
	v_fma_f16 v31, v37, s3, v8
	;; [unrolled: 1-line block ×4, first 2 shown]
	v_mul_f16_sdwa v8, v30, v9 dst_sel:DWORD dst_unused:UNUSED_PAD src0_sel:WORD_1 src1_sel:DWORD
	v_fma_f16 v12, v29, v12, -v33
	v_fma_f16 v33, v30, v9, -v34
	v_fma_f16 v29, v29, v39, v35
	v_fma_f16 v30, v30, v40, v8
	v_add_f16_e32 v8, v29, v30
	v_fma_f16 v36, v8, -0.5, v5
	v_add_f16_e32 v8, v12, v33
	v_fma_f16 v38, v8, -0.5, v7
	v_mad_u64_u32 v[8:9], s[4:5], s20, v0, 0
	v_add_f16_e32 v13, v13, v10
	v_sub_f16_e32 v10, v12, v33
	v_sub_f16_e32 v39, v29, v30
	v_add_f16_e32 v29, v5, v29
	v_mov_b32_e32 v5, v9
	v_fma_f16 v37, v10, s2, v36
	v_fma_f16 v36, v10, s3, v36
	v_mad_u64_u32 v[9:10], s[4:5], s21, v0, v[5:6]
	v_add_f16_e32 v5, v7, v12
	v_add_f16_e32 v10, v29, v30
	;; [unrolled: 1-line block ×3, first 2 shown]
	v_mov_b32_e32 v5, s15
	v_add_co_u32_e32 v7, vcc, s14, v3
	v_add_u32_e32 v29, 0x208, v0
	v_addc_co_u32_e32 v5, vcc, v5, v4, vcc
	v_mad_u64_u32 v[3:4], s[4:5], s20, v29, 0
	v_add_co_u32_e32 v1, vcc, v7, v1
	v_lshlrev_b64 v[7:8], 2, v[8:9]
	v_addc_co_u32_e32 v2, vcc, v5, v2, vcc
	v_mad_u64_u32 v[4:5], s[4:5], s21, v29, v[4:5]
	v_add_co_u32_e32 v7, vcc, v1, v7
	v_addc_co_u32_e32 v8, vcc, v2, v8, vcc
	v_pack_b32_f16 v5, v12, v10
	v_add_u32_e32 v9, 0x410, v0
	global_store_dword v[7:8], v5, off
	v_mad_u64_u32 v[7:8], s[4:5], s20, v9, 0
	v_lshlrev_b64 v[3:4], 2, v[3:4]
	v_fma_f16 v40, v39, s3, v38
	v_mov_b32_e32 v5, v8
	v_mad_u64_u32 v[8:9], s[4:5], s21, v9, v[5:6]
	v_fma_f16 v38, v39, s2, v38
	v_add_co_u32_e32 v3, vcc, v1, v3
	v_addc_co_u32_e32 v4, vcc, v2, v4, vcc
	v_pack_b32_f16 v5, v38, v36
	global_store_dword v[3:4], v5, off
	v_lshlrev_b64 v[3:4], 2, v[7:8]
	v_mad_u64_u32 v[7:8], s[4:5], s20, v21, 0
	v_add_co_u32_e32 v3, vcc, v1, v3
	v_mov_b32_e32 v5, v8
	v_mad_u64_u32 v[8:9], s[4:5], s21, v21, v[5:6]
	v_add_u32_e32 v21, 0x2a4, v0
	v_mad_u64_u32 v[9:10], s[4:5], s20, v21, 0
	v_addc_co_u32_e32 v4, vcc, v2, v4, vcc
	v_pack_b32_f16 v12, v40, v37
	v_mov_b32_e32 v5, v10
	global_store_dword v[3:4], v12, off
	v_lshlrev_b64 v[3:4], 2, v[7:8]
	v_mad_u64_u32 v[7:8], s[4:5], s21, v21, v[5:6]
	v_add_co_u32_e32 v3, vcc, v1, v3
	v_addc_co_u32_e32 v4, vcc, v2, v4, vcc
	v_pack_b32_f16 v5, v13, v27
	v_mov_b32_e32 v10, v7
	global_store_dword v[3:4], v5, off
	v_lshlrev_b64 v[3:4], 2, v[9:10]
	v_add_u32_e32 v9, 0x4ac, v0
	v_mad_u64_u32 v[7:8], s[4:5], s20, v9, 0
	s_mov_b32 s4, 0xfc0fc0fd
	v_mul_hi_u32 v10, v20, s4
	v_mov_b32_e32 v5, v8
	v_mad_u64_u32 v[8:9], s[4:5], s21, v9, v[5:6]
	v_lshrrev_b32_e32 v5, 9, v10
	v_mad_u32_u24 v13, v5, s6, v20
	v_mad_u64_u32 v[9:10], s[4:5], s20, v13, 0
	v_add_co_u32_e32 v3, vcc, v1, v3
	v_addc_co_u32_e32 v4, vcc, v2, v4, vcc
	v_pack_b32_f16 v12, v26, v24
	v_mov_b32_e32 v5, v10
	global_store_dword v[3:4], v12, off
	v_lshlrev_b64 v[3:4], 2, v[7:8]
	v_mad_u64_u32 v[7:8], s[4:5], s21, v13, v[5:6]
	v_add_co_u32_e32 v3, vcc, v1, v3
	v_addc_co_u32_e32 v4, vcc, v2, v4, vcc
	v_pack_b32_f16 v5, v31, v28
	v_mov_b32_e32 v10, v7
	global_store_dword v[3:4], v5, off
	v_lshlrev_b64 v[3:4], 2, v[9:10]
	v_add_u32_e32 v9, 0x208, v13
	v_mad_u64_u32 v[7:8], s[4:5], s20, v9, 0
	v_add_u32_e32 v13, 0x410, v13
	v_add_co_u32_e32 v3, vcc, v1, v3
	v_mov_b32_e32 v5, v8
	v_mad_u64_u32 v[8:9], s[4:5], s21, v9, v[5:6]
	v_mad_u64_u32 v[9:10], s[4:5], s20, v13, 0
	v_addc_co_u32_e32 v4, vcc, v2, v4, vcc
	v_pack_b32_f16 v12, v14, v25
	v_mov_b32_e32 v5, v10
	global_store_dword v[3:4], v12, off
	v_lshlrev_b64 v[3:4], 2, v[7:8]
	v_mad_u64_u32 v[7:8], s[4:5], s21, v13, v[5:6]
	v_fma_f16 v32, v42, -0.5, v32
	v_fma_f16 v11, v43, -0.5, v11
	v_fma_f16 v34, v41, s2, v32
	v_fma_f16 v35, v44, s3, v11
	;; [unrolled: 1-line block ×4, first 2 shown]
	v_add_co_u32_e32 v3, vcc, v1, v3
	v_addc_co_u32_e32 v4, vcc, v2, v4, vcc
	v_pack_b32_f16 v5, v11, v32
	v_mov_b32_e32 v10, v7
	global_store_dword v[3:4], v5, off
	v_lshlrev_b64 v[3:4], 2, v[9:10]
	v_pack_b32_f16 v5, v35, v34
	v_add_co_u32_e32 v3, vcc, v1, v3
	v_addc_co_u32_e32 v4, vcc, v2, v4, vcc
	global_store_dword v[3:4], v5, off
	s_and_b64 exec, exec, s[0:1]
	s_cbranch_execz .LBB0_18
; %bb.17:
	v_subrev_u32_e32 v3, 52, v0
	v_cndmask_b32_e64 v3, v3, v19, s[0:1]
	v_lshlrev_b32_e32 v5, 1, v3
	v_lshlrev_b64 v[3:4], 2, v[5:6]
	v_mov_b32_e32 v5, s9
	v_add_co_u32_e32 v3, vcc, s8, v3
	v_addc_co_u32_e32 v4, vcc, v5, v4, vcc
	global_load_dwordx2 v[3:4], v[3:4], off offset:2028
	v_mad_u64_u32 v[5:6], s[0:1], s20, v19, 0
	v_add_u32_e32 v13, 0x3dc, v0
	v_mad_u64_u32 v[7:8], s[0:1], s20, v13, 0
	v_add_u32_e32 v14, 0x5e4, v0
	v_mad_u64_u32 v[9:10], s[0:1], s20, v14, 0
	v_mov_b32_e32 v0, v6
	v_mad_u64_u32 v[11:12], s[0:1], s21, v19, v[0:1]
	v_mov_b32_e32 v0, v8
	;; [unrolled: 2-line block ×4, first 2 shown]
	v_lshlrev_b64 v[5:6], 2, v[5:6]
	v_mov_b32_e32 v8, v12
	v_lshlrev_b64 v[7:8], 2, v[7:8]
	v_add_co_u32_e32 v5, vcc, v1, v5
	v_mov_b32_e32 v10, v13
	v_addc_co_u32_e32 v6, vcc, v2, v6, vcc
	v_lshlrev_b64 v[9:10], 2, v[9:10]
	v_add_co_u32_e32 v7, vcc, v1, v7
	v_addc_co_u32_e32 v8, vcc, v2, v8, vcc
	v_add_co_u32_e32 v0, vcc, v1, v9
	v_addc_co_u32_e32 v1, vcc, v2, v10, vcc
	s_waitcnt vmcnt(0)
	v_mul_f16_sdwa v2, v18, v3 dst_sel:DWORD dst_unused:UNUSED_PAD src0_sel:DWORD src1_sel:WORD_1
	v_mul_f16_sdwa v9, v17, v3 dst_sel:DWORD dst_unused:UNUSED_PAD src0_sel:DWORD src1_sel:WORD_1
	;; [unrolled: 1-line block ×4, first 2 shown]
	v_fma_f16 v2, v17, v3, -v2
	v_fma_f16 v3, v18, v3, v9
	v_fma_f16 v9, v15, v4, -v10
	v_fma_f16 v4, v16, v4, v11
	v_add_f16_e32 v10, v22, v2
	v_add_f16_e32 v11, v2, v9
	v_sub_f16_e32 v12, v3, v4
	v_add_f16_e32 v13, v23, v3
	v_add_f16_e32 v3, v3, v4
	v_sub_f16_e32 v2, v2, v9
	v_add_f16_e32 v9, v10, v9
	v_fma_f16 v10, v11, -0.5, v22
	v_add_f16_e32 v4, v13, v4
	v_fma_f16 v3, v3, -0.5, v23
	v_fma_f16 v11, v12, s2, v10
	v_fma_f16 v10, v12, s3, v10
	;; [unrolled: 1-line block ×4, first 2 shown]
	v_pack_b32_f16 v3, v9, v4
	global_store_dword v[5:6], v3, off
	v_pack_b32_f16 v3, v11, v12
	v_pack_b32_f16 v2, v10, v2
	global_store_dword v[7:8], v3, off
	global_store_dword v[0:1], v2, off
.LBB0_18:
	s_endpgm
	.section	.rodata,"a",@progbits
	.p2align	6, 0x0
	.amdhsa_kernel fft_rtc_fwd_len1560_factors_13_2_2_10_3_wgs_156_tpt_156_half_op_CI_CI_sbrr_dirReg
		.amdhsa_group_segment_fixed_size 0
		.amdhsa_private_segment_fixed_size 0
		.amdhsa_kernarg_size 104
		.amdhsa_user_sgpr_count 6
		.amdhsa_user_sgpr_private_segment_buffer 1
		.amdhsa_user_sgpr_dispatch_ptr 0
		.amdhsa_user_sgpr_queue_ptr 0
		.amdhsa_user_sgpr_kernarg_segment_ptr 1
		.amdhsa_user_sgpr_dispatch_id 0
		.amdhsa_user_sgpr_flat_scratch_init 0
		.amdhsa_user_sgpr_private_segment_size 0
		.amdhsa_uses_dynamic_stack 0
		.amdhsa_system_sgpr_private_segment_wavefront_offset 0
		.amdhsa_system_sgpr_workgroup_id_x 1
		.amdhsa_system_sgpr_workgroup_id_y 0
		.amdhsa_system_sgpr_workgroup_id_z 0
		.amdhsa_system_sgpr_workgroup_info 0
		.amdhsa_system_vgpr_workitem_id 0
		.amdhsa_next_free_vgpr 126
		.amdhsa_next_free_sgpr 32
		.amdhsa_reserve_vcc 1
		.amdhsa_reserve_flat_scratch 0
		.amdhsa_float_round_mode_32 0
		.amdhsa_float_round_mode_16_64 0
		.amdhsa_float_denorm_mode_32 3
		.amdhsa_float_denorm_mode_16_64 3
		.amdhsa_dx10_clamp 1
		.amdhsa_ieee_mode 1
		.amdhsa_fp16_overflow 0
		.amdhsa_exception_fp_ieee_invalid_op 0
		.amdhsa_exception_fp_denorm_src 0
		.amdhsa_exception_fp_ieee_div_zero 0
		.amdhsa_exception_fp_ieee_overflow 0
		.amdhsa_exception_fp_ieee_underflow 0
		.amdhsa_exception_fp_ieee_inexact 0
		.amdhsa_exception_int_div_zero 0
	.end_amdhsa_kernel
	.text
.Lfunc_end0:
	.size	fft_rtc_fwd_len1560_factors_13_2_2_10_3_wgs_156_tpt_156_half_op_CI_CI_sbrr_dirReg, .Lfunc_end0-fft_rtc_fwd_len1560_factors_13_2_2_10_3_wgs_156_tpt_156_half_op_CI_CI_sbrr_dirReg
                                        ; -- End function
	.section	.AMDGPU.csdata,"",@progbits
; Kernel info:
; codeLenInByte = 9596
; NumSgprs: 36
; NumVgprs: 126
; ScratchSize: 0
; MemoryBound: 0
; FloatMode: 240
; IeeeMode: 1
; LDSByteSize: 0 bytes/workgroup (compile time only)
; SGPRBlocks: 4
; VGPRBlocks: 31
; NumSGPRsForWavesPerEU: 36
; NumVGPRsForWavesPerEU: 126
; Occupancy: 2
; WaveLimiterHint : 1
; COMPUTE_PGM_RSRC2:SCRATCH_EN: 0
; COMPUTE_PGM_RSRC2:USER_SGPR: 6
; COMPUTE_PGM_RSRC2:TRAP_HANDLER: 0
; COMPUTE_PGM_RSRC2:TGID_X_EN: 1
; COMPUTE_PGM_RSRC2:TGID_Y_EN: 0
; COMPUTE_PGM_RSRC2:TGID_Z_EN: 0
; COMPUTE_PGM_RSRC2:TIDIG_COMP_CNT: 0
	.type	__hip_cuid_4a03533aa3b65b63,@object ; @__hip_cuid_4a03533aa3b65b63
	.section	.bss,"aw",@nobits
	.globl	__hip_cuid_4a03533aa3b65b63
__hip_cuid_4a03533aa3b65b63:
	.byte	0                               ; 0x0
	.size	__hip_cuid_4a03533aa3b65b63, 1

	.ident	"AMD clang version 19.0.0git (https://github.com/RadeonOpenCompute/llvm-project roc-6.4.0 25133 c7fe45cf4b819c5991fe208aaa96edf142730f1d)"
	.section	".note.GNU-stack","",@progbits
	.addrsig
	.addrsig_sym __hip_cuid_4a03533aa3b65b63
	.amdgpu_metadata
---
amdhsa.kernels:
  - .args:
      - .actual_access:  read_only
        .address_space:  global
        .offset:         0
        .size:           8
        .value_kind:     global_buffer
      - .offset:         8
        .size:           8
        .value_kind:     by_value
      - .actual_access:  read_only
        .address_space:  global
        .offset:         16
        .size:           8
        .value_kind:     global_buffer
      - .actual_access:  read_only
        .address_space:  global
        .offset:         24
        .size:           8
        .value_kind:     global_buffer
      - .actual_access:  read_only
        .address_space:  global
        .offset:         32
        .size:           8
        .value_kind:     global_buffer
      - .offset:         40
        .size:           8
        .value_kind:     by_value
      - .actual_access:  read_only
        .address_space:  global
        .offset:         48
        .size:           8
        .value_kind:     global_buffer
      - .actual_access:  read_only
        .address_space:  global
        .offset:         56
        .size:           8
        .value_kind:     global_buffer
      - .offset:         64
        .size:           4
        .value_kind:     by_value
      - .actual_access:  read_only
        .address_space:  global
        .offset:         72
        .size:           8
        .value_kind:     global_buffer
      - .actual_access:  read_only
        .address_space:  global
        .offset:         80
        .size:           8
        .value_kind:     global_buffer
      - .actual_access:  read_only
        .address_space:  global
        .offset:         88
        .size:           8
        .value_kind:     global_buffer
      - .actual_access:  write_only
        .address_space:  global
        .offset:         96
        .size:           8
        .value_kind:     global_buffer
    .group_segment_fixed_size: 0
    .kernarg_segment_align: 8
    .kernarg_segment_size: 104
    .language:       OpenCL C
    .language_version:
      - 2
      - 0
    .max_flat_workgroup_size: 156
    .name:           fft_rtc_fwd_len1560_factors_13_2_2_10_3_wgs_156_tpt_156_half_op_CI_CI_sbrr_dirReg
    .private_segment_fixed_size: 0
    .sgpr_count:     36
    .sgpr_spill_count: 0
    .symbol:         fft_rtc_fwd_len1560_factors_13_2_2_10_3_wgs_156_tpt_156_half_op_CI_CI_sbrr_dirReg.kd
    .uniform_work_group_size: 1
    .uses_dynamic_stack: false
    .vgpr_count:     126
    .vgpr_spill_count: 0
    .wavefront_size: 64
amdhsa.target:   amdgcn-amd-amdhsa--gfx906
amdhsa.version:
  - 1
  - 2
...

	.end_amdgpu_metadata
